;; amdgpu-corpus repo=pytorch/pytorch kind=compiled arch=gfx906 opt=O3
	.amdgcn_target "amdgcn-amd-amdhsa--gfx906"
	.amdhsa_code_object_version 6
	.section	.text._ZL19compute_cuda_kernelIiEvPKT_PKlPS0_ll,"axG",@progbits,_ZL19compute_cuda_kernelIiEvPKT_PKlPS0_ll,comdat
	.globl	_ZL19compute_cuda_kernelIiEvPKT_PKlPS0_ll ; -- Begin function _ZL19compute_cuda_kernelIiEvPKT_PKlPS0_ll
	.p2align	8
	.type	_ZL19compute_cuda_kernelIiEvPKT_PKlPS0_ll,@function
_ZL19compute_cuda_kernelIiEvPKT_PKlPS0_ll: ; @_ZL19compute_cuda_kernelIiEvPKT_PKlPS0_ll
; %bb.0:
	s_load_dwordx8 s[8:15], s[4:5], 0x0
	s_load_dwordx2 s[0:1], s[4:5], 0x20
	s_waitcnt lgkmcnt(0)
	s_lshl_b64 s[2:3], s[14:15], 3
	s_add_u32 s2, s10, s2
	s_addc_u32 s3, s11, s3
	s_add_u32 s2, s2, -8
	s_addc_u32 s3, s3, -1
	s_load_dwordx2 s[2:3], s[2:3], 0x0
	s_waitcnt lgkmcnt(0)
	s_cmp_eq_u64 s[0:1], s[2:3]
	s_cbranch_scc0 .LBB0_17
; %bb.1:
	s_mov_b64 s[2:3], 0
.LBB0_2:
	s_load_dword s7, s[4:5], 0x34
	s_add_u32 s0, s4, 40
	v_mov_b32_e32 v1, 0
	v_mov_b32_e32 v2, s6
	s_addc_u32 s1, s5, 0
	s_waitcnt lgkmcnt(0)
	s_and_b32 s16, s7, 0xffff
	v_mad_u64_u32 v[2:3], s[4:5], s16, v2, v[0:1]
	v_lshrrev_b64 v[0:1], 6, v[2:3]
	v_ashrrev_i32_e32 v1, 31, v0
	v_cmp_gt_i64_e32 vcc, s[14:15], v[0:1]
	s_and_saveexec_b64 s[4:5], vcc
	s_cbranch_execz .LBB0_12
; %bb.3:
	s_load_dword s0, s[0:1], 0x0
	v_and_b32_e32 v8, 63, v2
	s_mov_b64 s[6:7], 0
	v_mov_b32_e32 v9, s9
                                        ; implicit-def: $sgpr20_sgpr21
                                        ; implicit-def: $sgpr18_sgpr19
	s_waitcnt lgkmcnt(0)
	s_mul_i32 s0, s0, s16
	s_lshr_b32 s28, s0, 6
                                        ; implicit-def: $sgpr16_sgpr17
.LBB0_4:                                ; =>This Loop Header: Depth=1
                                        ;     Child Loop BB0_7 Depth 2
	v_lshlrev_b64 v[2:3], 2, v[0:1]
	s_or_b64 s[18:19], s[18:19], exec
	v_add_co_u32_e32 v2, vcc, s8, v2
	v_addc_co_u32_e32 v3, vcc, v9, v3, vcc
	global_load_dword v4, v[2:3], off
	s_or_b64 s[20:21], s[20:21], exec
	s_waitcnt vmcnt(0)
	v_cmp_lt_i32_e32 vcc, -1, v4
	s_and_saveexec_b64 s[22:23], vcc
	s_cbranch_execz .LBB0_9
; %bb.5:                                ;   in Loop: Header=BB0_4 Depth=1
	v_lshlrev_b64 v[2:3], 3, v[0:1]
	v_mov_b32_e32 v5, s11
	v_add_co_u32_e32 v2, vcc, s10, v2
	v_addc_co_u32_e32 v3, vcc, v5, v3, vcc
	global_load_dwordx2 v[2:3], v[2:3], off
	s_waitcnt vmcnt(0)
	v_add_co_u32_e32 v5, vcc, v2, v8
	v_addc_co_u32_e32 v6, vcc, 0, v3, vcc
	v_sub_co_u32_e32 v4, vcc, v5, v4
	v_subbrev_co_u32_e32 v5, vcc, 0, v6, vcc
	v_cmp_lt_i64_e32 vcc, v[4:5], v[2:3]
	s_and_saveexec_b64 s[24:25], vcc
	s_cbranch_execz .LBB0_8
; %bb.6:                                ;   in Loop: Header=BB0_4 Depth=1
	v_lshlrev_b64 v[6:7], 2, v[4:5]
	v_mov_b32_e32 v10, s13
	v_add_co_u32_e32 v6, vcc, s12, v6
	v_addc_co_u32_e32 v7, vcc, v10, v7, vcc
	s_mov_b64 s[26:27], 0
.LBB0_7:                                ;   Parent Loop BB0_4 Depth=1
                                        ; =>  This Inner Loop Header: Depth=2
	v_add_co_u32_e32 v4, vcc, 64, v4
	v_addc_co_u32_e32 v5, vcc, 0, v5, vcc
	v_cmp_ge_i64_e64 s[0:1], v[4:5], v[2:3]
	global_store_dword v[6:7], v0, off
	v_add_co_u32_e32 v6, vcc, 0x100, v6
	s_or_b64 s[26:27], s[0:1], s[26:27]
	v_addc_co_u32_e32 v7, vcc, 0, v7, vcc
	s_andn2_b64 exec, exec, s[26:27]
	s_cbranch_execnz .LBB0_7
.LBB0_8:                                ;   in Loop: Header=BB0_4 Depth=1
	s_or_b64 exec, exec, s[24:25]
	v_add_co_u32_e32 v0, vcc, s28, v0
	v_addc_co_u32_e32 v1, vcc, 0, v1, vcc
	v_cmp_le_i64_e32 vcc, s[14:15], v[0:1]
	s_andn2_b64 s[0:1], s[20:21], exec
	s_and_b64 s[20:21], vcc, exec
	s_andn2_b64 s[18:19], s[18:19], exec
	s_or_b64 s[20:21], s[0:1], s[20:21]
.LBB0_9:                                ;   in Loop: Header=BB0_4 Depth=1
	s_or_b64 exec, exec, s[22:23]
	s_and_b64 s[0:1], exec, s[20:21]
	s_or_b64 s[6:7], s[0:1], s[6:7]
	s_andn2_b64 s[0:1], s[16:17], exec
	s_and_b64 s[16:17], s[18:19], exec
	s_or_b64 s[16:17], s[0:1], s[16:17]
	s_andn2_b64 exec, exec, s[6:7]
	s_cbranch_execnz .LBB0_4
; %bb.10:
	s_or_b64 exec, exec, s[6:7]
	s_mov_b64 s[0:1], s[2:3]
	s_and_saveexec_b64 s[6:7], s[16:17]
	s_xor_b64 s[6:7], exec, s[6:7]
	s_cbranch_execnz .LBB0_16
.LBB0_11:
	s_or_b64 exec, exec, s[6:7]
	s_andn2_b64 s[2:3], s[2:3], exec
	s_and_b64 s[0:1], s[0:1], exec
	s_or_b64 s[2:3], s[2:3], s[0:1]
.LBB0_12:
	s_or_b64 exec, exec, s[4:5]
.LBB0_13:
	s_and_saveexec_b64 s[0:1], s[2:3]
	s_cbranch_execnz .LBB0_15
; %bb.14:
	s_endpgm
.LBB0_15:
	; divergent unreachable
	s_endpgm
.LBB0_16:
	s_or_b64 s[0:1], s[2:3], exec
	s_trap 2
	s_branch .LBB0_11
.LBB0_17:
	s_mov_b64 s[2:3], -1
	s_trap 2
	s_cbranch_execz .LBB0_2
	s_branch .LBB0_13
	.section	.rodata,"a",@progbits
	.p2align	6, 0x0
	.amdhsa_kernel _ZL19compute_cuda_kernelIiEvPKT_PKlPS0_ll
		.amdhsa_group_segment_fixed_size 0
		.amdhsa_private_segment_fixed_size 0
		.amdhsa_kernarg_size 296
		.amdhsa_user_sgpr_count 6
		.amdhsa_user_sgpr_private_segment_buffer 1
		.amdhsa_user_sgpr_dispatch_ptr 0
		.amdhsa_user_sgpr_queue_ptr 0
		.amdhsa_user_sgpr_kernarg_segment_ptr 1
		.amdhsa_user_sgpr_dispatch_id 0
		.amdhsa_user_sgpr_flat_scratch_init 0
		.amdhsa_user_sgpr_private_segment_size 0
		.amdhsa_uses_dynamic_stack 0
		.amdhsa_system_sgpr_private_segment_wavefront_offset 0
		.amdhsa_system_sgpr_workgroup_id_x 1
		.amdhsa_system_sgpr_workgroup_id_y 0
		.amdhsa_system_sgpr_workgroup_id_z 0
		.amdhsa_system_sgpr_workgroup_info 0
		.amdhsa_system_vgpr_workitem_id 0
		.amdhsa_next_free_vgpr 11
		.amdhsa_next_free_sgpr 29
		.amdhsa_reserve_vcc 1
		.amdhsa_reserve_flat_scratch 0
		.amdhsa_float_round_mode_32 0
		.amdhsa_float_round_mode_16_64 0
		.amdhsa_float_denorm_mode_32 3
		.amdhsa_float_denorm_mode_16_64 3
		.amdhsa_dx10_clamp 1
		.amdhsa_ieee_mode 1
		.amdhsa_fp16_overflow 0
		.amdhsa_exception_fp_ieee_invalid_op 0
		.amdhsa_exception_fp_denorm_src 0
		.amdhsa_exception_fp_ieee_div_zero 0
		.amdhsa_exception_fp_ieee_overflow 0
		.amdhsa_exception_fp_ieee_underflow 0
		.amdhsa_exception_fp_ieee_inexact 0
		.amdhsa_exception_int_div_zero 0
	.end_amdhsa_kernel
	.section	.text._ZL19compute_cuda_kernelIiEvPKT_PKlPS0_ll,"axG",@progbits,_ZL19compute_cuda_kernelIiEvPKT_PKlPS0_ll,comdat
.Lfunc_end0:
	.size	_ZL19compute_cuda_kernelIiEvPKT_PKlPS0_ll, .Lfunc_end0-_ZL19compute_cuda_kernelIiEvPKT_PKlPS0_ll
                                        ; -- End function
	.set _ZL19compute_cuda_kernelIiEvPKT_PKlPS0_ll.num_vgpr, 11
	.set _ZL19compute_cuda_kernelIiEvPKT_PKlPS0_ll.num_agpr, 0
	.set _ZL19compute_cuda_kernelIiEvPKT_PKlPS0_ll.numbered_sgpr, 29
	.set _ZL19compute_cuda_kernelIiEvPKT_PKlPS0_ll.num_named_barrier, 0
	.set _ZL19compute_cuda_kernelIiEvPKT_PKlPS0_ll.private_seg_size, 0
	.set _ZL19compute_cuda_kernelIiEvPKT_PKlPS0_ll.uses_vcc, 1
	.set _ZL19compute_cuda_kernelIiEvPKT_PKlPS0_ll.uses_flat_scratch, 0
	.set _ZL19compute_cuda_kernelIiEvPKT_PKlPS0_ll.has_dyn_sized_stack, 0
	.set _ZL19compute_cuda_kernelIiEvPKT_PKlPS0_ll.has_recursion, 0
	.set _ZL19compute_cuda_kernelIiEvPKT_PKlPS0_ll.has_indirect_call, 0
	.section	.AMDGPU.csdata,"",@progbits
; Kernel info:
; codeLenInByte = 492
; TotalNumSgprs: 33
; NumVgprs: 11
; ScratchSize: 0
; MemoryBound: 0
; FloatMode: 240
; IeeeMode: 1
; LDSByteSize: 0 bytes/workgroup (compile time only)
; SGPRBlocks: 4
; VGPRBlocks: 2
; NumSGPRsForWavesPerEU: 33
; NumVGPRsForWavesPerEU: 11
; Occupancy: 10
; WaveLimiterHint : 0
; COMPUTE_PGM_RSRC2:SCRATCH_EN: 0
; COMPUTE_PGM_RSRC2:USER_SGPR: 6
; COMPUTE_PGM_RSRC2:TRAP_HANDLER: 0
; COMPUTE_PGM_RSRC2:TGID_X_EN: 1
; COMPUTE_PGM_RSRC2:TGID_Y_EN: 0
; COMPUTE_PGM_RSRC2:TGID_Z_EN: 0
; COMPUTE_PGM_RSRC2:TIDIG_COMP_CNT: 0
	.section	.text._ZL19compute_cuda_kernelIlEvPKT_PKlPS0_ll,"axG",@progbits,_ZL19compute_cuda_kernelIlEvPKT_PKlPS0_ll,comdat
	.globl	_ZL19compute_cuda_kernelIlEvPKT_PKlPS0_ll ; -- Begin function _ZL19compute_cuda_kernelIlEvPKT_PKlPS0_ll
	.p2align	8
	.type	_ZL19compute_cuda_kernelIlEvPKT_PKlPS0_ll,@function
_ZL19compute_cuda_kernelIlEvPKT_PKlPS0_ll: ; @_ZL19compute_cuda_kernelIlEvPKT_PKlPS0_ll
; %bb.0:
	s_load_dwordx8 s[8:15], s[4:5], 0x0
	s_load_dwordx2 s[0:1], s[4:5], 0x20
	s_waitcnt lgkmcnt(0)
	s_lshl_b64 s[2:3], s[14:15], 3
	s_add_u32 s2, s10, s2
	s_addc_u32 s3, s11, s3
	s_add_u32 s2, s2, -8
	s_addc_u32 s3, s3, -1
	s_load_dwordx2 s[2:3], s[2:3], 0x0
	s_waitcnt lgkmcnt(0)
	s_cmp_eq_u64 s[0:1], s[2:3]
	s_cbranch_scc0 .LBB1_17
; %bb.1:
	s_mov_b64 s[2:3], 0
.LBB1_2:
	s_load_dword s7, s[4:5], 0x34
	s_add_u32 s0, s4, 40
	v_mov_b32_e32 v1, 0
	v_mov_b32_e32 v2, s6
	s_addc_u32 s1, s5, 0
	s_waitcnt lgkmcnt(0)
	s_and_b32 s16, s7, 0xffff
	v_mad_u64_u32 v[2:3], s[4:5], s16, v2, v[0:1]
	v_lshrrev_b64 v[0:1], 6, v[2:3]
	v_ashrrev_i32_e32 v1, 31, v0
	v_cmp_gt_i64_e32 vcc, s[14:15], v[0:1]
	s_and_saveexec_b64 s[4:5], vcc
	s_cbranch_execz .LBB1_12
; %bb.3:
	s_load_dword s0, s[0:1], 0x0
	v_and_b32_e32 v8, 63, v2
	s_mov_b64 s[6:7], 0
	v_mov_b32_e32 v9, s9
                                        ; implicit-def: $sgpr20_sgpr21
                                        ; implicit-def: $sgpr18_sgpr19
	s_waitcnt lgkmcnt(0)
	s_mul_i32 s0, s0, s16
	s_lshr_b32 s28, s0, 6
                                        ; implicit-def: $sgpr16_sgpr17
.LBB1_4:                                ; =>This Loop Header: Depth=1
                                        ;     Child Loop BB1_7 Depth 2
	v_lshlrev_b64 v[2:3], 3, v[0:1]
	s_or_b64 s[18:19], s[18:19], exec
	v_add_co_u32_e32 v4, vcc, s8, v2
	v_addc_co_u32_e32 v5, vcc, v9, v3, vcc
	global_load_dwordx2 v[4:5], v[4:5], off
	s_or_b64 s[20:21], s[20:21], exec
	s_waitcnt vmcnt(0)
	v_cmp_lt_i64_e32 vcc, -1, v[4:5]
	s_and_saveexec_b64 s[22:23], vcc
	s_cbranch_execz .LBB1_9
; %bb.5:                                ;   in Loop: Header=BB1_4 Depth=1
	v_mov_b32_e32 v6, s11
	v_add_co_u32_e32 v2, vcc, s10, v2
	v_addc_co_u32_e32 v3, vcc, v6, v3, vcc
	global_load_dwordx2 v[2:3], v[2:3], off
	s_waitcnt vmcnt(0)
	v_add_co_u32_e32 v6, vcc, v2, v8
	v_addc_co_u32_e32 v7, vcc, 0, v3, vcc
	v_sub_co_u32_e32 v4, vcc, v6, v4
	v_subb_co_u32_e32 v5, vcc, v7, v5, vcc
	v_cmp_lt_i64_e32 vcc, v[4:5], v[2:3]
	s_and_saveexec_b64 s[24:25], vcc
	s_cbranch_execz .LBB1_8
; %bb.6:                                ;   in Loop: Header=BB1_4 Depth=1
	v_lshlrev_b64 v[6:7], 3, v[4:5]
	v_mov_b32_e32 v10, s13
	v_add_co_u32_e32 v6, vcc, s12, v6
	v_addc_co_u32_e32 v7, vcc, v10, v7, vcc
	s_mov_b64 s[26:27], 0
.LBB1_7:                                ;   Parent Loop BB1_4 Depth=1
                                        ; =>  This Inner Loop Header: Depth=2
	v_add_co_u32_e32 v4, vcc, 64, v4
	v_addc_co_u32_e32 v5, vcc, 0, v5, vcc
	v_cmp_ge_i64_e64 s[0:1], v[4:5], v[2:3]
	global_store_dwordx2 v[6:7], v[0:1], off
	v_add_co_u32_e32 v6, vcc, 0x200, v6
	s_or_b64 s[26:27], s[0:1], s[26:27]
	v_addc_co_u32_e32 v7, vcc, 0, v7, vcc
	s_andn2_b64 exec, exec, s[26:27]
	s_cbranch_execnz .LBB1_7
.LBB1_8:                                ;   in Loop: Header=BB1_4 Depth=1
	s_or_b64 exec, exec, s[24:25]
	v_add_co_u32_e32 v0, vcc, s28, v0
	v_addc_co_u32_e32 v1, vcc, 0, v1, vcc
	v_cmp_le_i64_e32 vcc, s[14:15], v[0:1]
	s_andn2_b64 s[0:1], s[20:21], exec
	s_and_b64 s[20:21], vcc, exec
	s_andn2_b64 s[18:19], s[18:19], exec
	s_or_b64 s[20:21], s[0:1], s[20:21]
.LBB1_9:                                ;   in Loop: Header=BB1_4 Depth=1
	s_or_b64 exec, exec, s[22:23]
	s_and_b64 s[0:1], exec, s[20:21]
	s_or_b64 s[6:7], s[0:1], s[6:7]
	s_andn2_b64 s[0:1], s[16:17], exec
	s_and_b64 s[16:17], s[18:19], exec
	s_or_b64 s[16:17], s[0:1], s[16:17]
	s_andn2_b64 exec, exec, s[6:7]
	s_cbranch_execnz .LBB1_4
; %bb.10:
	s_or_b64 exec, exec, s[6:7]
	s_mov_b64 s[0:1], s[2:3]
	s_and_saveexec_b64 s[6:7], s[16:17]
	s_xor_b64 s[6:7], exec, s[6:7]
	s_cbranch_execnz .LBB1_16
.LBB1_11:
	s_or_b64 exec, exec, s[6:7]
	s_andn2_b64 s[2:3], s[2:3], exec
	s_and_b64 s[0:1], s[0:1], exec
	s_or_b64 s[2:3], s[2:3], s[0:1]
.LBB1_12:
	s_or_b64 exec, exec, s[4:5]
.LBB1_13:
	s_and_saveexec_b64 s[0:1], s[2:3]
	s_cbranch_execnz .LBB1_15
; %bb.14:
	s_endpgm
.LBB1_15:
	; divergent unreachable
	s_endpgm
.LBB1_16:
	s_or_b64 s[0:1], s[2:3], exec
	s_trap 2
	s_branch .LBB1_11
.LBB1_17:
	s_mov_b64 s[2:3], -1
	s_trap 2
	s_cbranch_execz .LBB1_2
	s_branch .LBB1_13
	.section	.rodata,"a",@progbits
	.p2align	6, 0x0
	.amdhsa_kernel _ZL19compute_cuda_kernelIlEvPKT_PKlPS0_ll
		.amdhsa_group_segment_fixed_size 0
		.amdhsa_private_segment_fixed_size 0
		.amdhsa_kernarg_size 296
		.amdhsa_user_sgpr_count 6
		.amdhsa_user_sgpr_private_segment_buffer 1
		.amdhsa_user_sgpr_dispatch_ptr 0
		.amdhsa_user_sgpr_queue_ptr 0
		.amdhsa_user_sgpr_kernarg_segment_ptr 1
		.amdhsa_user_sgpr_dispatch_id 0
		.amdhsa_user_sgpr_flat_scratch_init 0
		.amdhsa_user_sgpr_private_segment_size 0
		.amdhsa_uses_dynamic_stack 0
		.amdhsa_system_sgpr_private_segment_wavefront_offset 0
		.amdhsa_system_sgpr_workgroup_id_x 1
		.amdhsa_system_sgpr_workgroup_id_y 0
		.amdhsa_system_sgpr_workgroup_id_z 0
		.amdhsa_system_sgpr_workgroup_info 0
		.amdhsa_system_vgpr_workitem_id 0
		.amdhsa_next_free_vgpr 11
		.amdhsa_next_free_sgpr 29
		.amdhsa_reserve_vcc 1
		.amdhsa_reserve_flat_scratch 0
		.amdhsa_float_round_mode_32 0
		.amdhsa_float_round_mode_16_64 0
		.amdhsa_float_denorm_mode_32 3
		.amdhsa_float_denorm_mode_16_64 3
		.amdhsa_dx10_clamp 1
		.amdhsa_ieee_mode 1
		.amdhsa_fp16_overflow 0
		.amdhsa_exception_fp_ieee_invalid_op 0
		.amdhsa_exception_fp_denorm_src 0
		.amdhsa_exception_fp_ieee_div_zero 0
		.amdhsa_exception_fp_ieee_overflow 0
		.amdhsa_exception_fp_ieee_underflow 0
		.amdhsa_exception_fp_ieee_inexact 0
		.amdhsa_exception_int_div_zero 0
	.end_amdhsa_kernel
	.section	.text._ZL19compute_cuda_kernelIlEvPKT_PKlPS0_ll,"axG",@progbits,_ZL19compute_cuda_kernelIlEvPKT_PKlPS0_ll,comdat
.Lfunc_end1:
	.size	_ZL19compute_cuda_kernelIlEvPKT_PKlPS0_ll, .Lfunc_end1-_ZL19compute_cuda_kernelIlEvPKT_PKlPS0_ll
                                        ; -- End function
	.set _ZL19compute_cuda_kernelIlEvPKT_PKlPS0_ll.num_vgpr, 11
	.set _ZL19compute_cuda_kernelIlEvPKT_PKlPS0_ll.num_agpr, 0
	.set _ZL19compute_cuda_kernelIlEvPKT_PKlPS0_ll.numbered_sgpr, 29
	.set _ZL19compute_cuda_kernelIlEvPKT_PKlPS0_ll.num_named_barrier, 0
	.set _ZL19compute_cuda_kernelIlEvPKT_PKlPS0_ll.private_seg_size, 0
	.set _ZL19compute_cuda_kernelIlEvPKT_PKlPS0_ll.uses_vcc, 1
	.set _ZL19compute_cuda_kernelIlEvPKT_PKlPS0_ll.uses_flat_scratch, 0
	.set _ZL19compute_cuda_kernelIlEvPKT_PKlPS0_ll.has_dyn_sized_stack, 0
	.set _ZL19compute_cuda_kernelIlEvPKT_PKlPS0_ll.has_recursion, 0
	.set _ZL19compute_cuda_kernelIlEvPKT_PKlPS0_ll.has_indirect_call, 0
	.section	.AMDGPU.csdata,"",@progbits
; Kernel info:
; codeLenInByte = 484
; TotalNumSgprs: 33
; NumVgprs: 11
; ScratchSize: 0
; MemoryBound: 0
; FloatMode: 240
; IeeeMode: 1
; LDSByteSize: 0 bytes/workgroup (compile time only)
; SGPRBlocks: 4
; VGPRBlocks: 2
; NumSGPRsForWavesPerEU: 33
; NumVGPRsForWavesPerEU: 11
; Occupancy: 10
; WaveLimiterHint : 0
; COMPUTE_PGM_RSRC2:SCRATCH_EN: 0
; COMPUTE_PGM_RSRC2:USER_SGPR: 6
; COMPUTE_PGM_RSRC2:TRAP_HANDLER: 0
; COMPUTE_PGM_RSRC2:TGID_X_EN: 1
; COMPUTE_PGM_RSRC2:TGID_Y_EN: 0
; COMPUTE_PGM_RSRC2:TGID_Z_EN: 0
; COMPUTE_PGM_RSRC2:TIDIG_COMP_CNT: 0
	.section	.AMDGPU.gpr_maximums,"",@progbits
	.set amdgpu.max_num_vgpr, 0
	.set amdgpu.max_num_agpr, 0
	.set amdgpu.max_num_sgpr, 0
	.section	.AMDGPU.csdata,"",@progbits
	.type	__hip_cuid_352b9e1d804b2660,@object ; @__hip_cuid_352b9e1d804b2660
	.section	.bss,"aw",@nobits
	.globl	__hip_cuid_352b9e1d804b2660
__hip_cuid_352b9e1d804b2660:
	.byte	0                               ; 0x0
	.size	__hip_cuid_352b9e1d804b2660, 1

	.ident	"AMD clang version 22.0.0git (https://github.com/RadeonOpenCompute/llvm-project roc-7.2.4 26084 f58b06dce1f9c15707c5f808fd002e18c2accf7e)"
	.section	".note.GNU-stack","",@progbits
	.addrsig
	.addrsig_sym __hip_cuid_352b9e1d804b2660
	.amdgpu_metadata
---
amdhsa.kernels:
  - .args:
      - .address_space:  global
        .offset:         0
        .size:           8
        .value_kind:     global_buffer
      - .address_space:  global
        .offset:         8
        .size:           8
        .value_kind:     global_buffer
      - .address_space:  global
        .offset:         16
        .size:           8
        .value_kind:     global_buffer
      - .offset:         24
        .size:           8
        .value_kind:     by_value
      - .offset:         32
        .size:           8
        .value_kind:     by_value
      - .offset:         40
        .size:           4
        .value_kind:     hidden_block_count_x
      - .offset:         44
        .size:           4
        .value_kind:     hidden_block_count_y
      - .offset:         48
        .size:           4
        .value_kind:     hidden_block_count_z
      - .offset:         52
        .size:           2
        .value_kind:     hidden_group_size_x
      - .offset:         54
        .size:           2
        .value_kind:     hidden_group_size_y
      - .offset:         56
        .size:           2
        .value_kind:     hidden_group_size_z
      - .offset:         58
        .size:           2
        .value_kind:     hidden_remainder_x
      - .offset:         60
        .size:           2
        .value_kind:     hidden_remainder_y
      - .offset:         62
        .size:           2
        .value_kind:     hidden_remainder_z
      - .offset:         80
        .size:           8
        .value_kind:     hidden_global_offset_x
      - .offset:         88
        .size:           8
        .value_kind:     hidden_global_offset_y
      - .offset:         96
        .size:           8
        .value_kind:     hidden_global_offset_z
      - .offset:         104
        .size:           2
        .value_kind:     hidden_grid_dims
    .group_segment_fixed_size: 0
    .kernarg_segment_align: 8
    .kernarg_segment_size: 296
    .language:       OpenCL C
    .language_version:
      - 2
      - 0
    .max_flat_workgroup_size: 1024
    .name:           _ZL19compute_cuda_kernelIiEvPKT_PKlPS0_ll
    .private_segment_fixed_size: 0
    .sgpr_count:     33
    .sgpr_spill_count: 0
    .symbol:         _ZL19compute_cuda_kernelIiEvPKT_PKlPS0_ll.kd
    .uniform_work_group_size: 1
    .uses_dynamic_stack: false
    .vgpr_count:     11
    .vgpr_spill_count: 0
    .wavefront_size: 64
  - .args:
      - .address_space:  global
        .offset:         0
        .size:           8
        .value_kind:     global_buffer
      - .address_space:  global
        .offset:         8
        .size:           8
        .value_kind:     global_buffer
      - .address_space:  global
        .offset:         16
        .size:           8
        .value_kind:     global_buffer
      - .offset:         24
        .size:           8
        .value_kind:     by_value
      - .offset:         32
        .size:           8
        .value_kind:     by_value
      - .offset:         40
        .size:           4
        .value_kind:     hidden_block_count_x
      - .offset:         44
        .size:           4
        .value_kind:     hidden_block_count_y
      - .offset:         48
        .size:           4
        .value_kind:     hidden_block_count_z
      - .offset:         52
        .size:           2
        .value_kind:     hidden_group_size_x
      - .offset:         54
        .size:           2
        .value_kind:     hidden_group_size_y
      - .offset:         56
        .size:           2
        .value_kind:     hidden_group_size_z
      - .offset:         58
        .size:           2
        .value_kind:     hidden_remainder_x
      - .offset:         60
        .size:           2
        .value_kind:     hidden_remainder_y
      - .offset:         62
        .size:           2
        .value_kind:     hidden_remainder_z
      - .offset:         80
        .size:           8
        .value_kind:     hidden_global_offset_x
      - .offset:         88
        .size:           8
        .value_kind:     hidden_global_offset_y
      - .offset:         96
        .size:           8
        .value_kind:     hidden_global_offset_z
      - .offset:         104
        .size:           2
        .value_kind:     hidden_grid_dims
    .group_segment_fixed_size: 0
    .kernarg_segment_align: 8
    .kernarg_segment_size: 296
    .language:       OpenCL C
    .language_version:
      - 2
      - 0
    .max_flat_workgroup_size: 1024
    .name:           _ZL19compute_cuda_kernelIlEvPKT_PKlPS0_ll
    .private_segment_fixed_size: 0
    .sgpr_count:     33
    .sgpr_spill_count: 0
    .symbol:         _ZL19compute_cuda_kernelIlEvPKT_PKlPS0_ll.kd
    .uniform_work_group_size: 1
    .uses_dynamic_stack: false
    .vgpr_count:     11
    .vgpr_spill_count: 0
    .wavefront_size: 64
amdhsa.target:   amdgcn-amd-amdhsa--gfx906
amdhsa.version:
  - 1
  - 2
...

	.end_amdgpu_metadata
